;; amdgpu-corpus repo=ROCm/rocFFT kind=compiled arch=gfx906 opt=O3
	.text
	.amdgcn_target "amdgcn-amd-amdhsa--gfx906"
	.amdhsa_code_object_version 6
	.protected	fft_rtc_back_len208_factors_13_16_wgs_64_tpt_16_halfLds_sp_op_CI_CI_unitstride_sbrr_dirReg ; -- Begin function fft_rtc_back_len208_factors_13_16_wgs_64_tpt_16_halfLds_sp_op_CI_CI_unitstride_sbrr_dirReg
	.globl	fft_rtc_back_len208_factors_13_16_wgs_64_tpt_16_halfLds_sp_op_CI_CI_unitstride_sbrr_dirReg
	.p2align	8
	.type	fft_rtc_back_len208_factors_13_16_wgs_64_tpt_16_halfLds_sp_op_CI_CI_unitstride_sbrr_dirReg,@function
fft_rtc_back_len208_factors_13_16_wgs_64_tpt_16_halfLds_sp_op_CI_CI_unitstride_sbrr_dirReg: ; @fft_rtc_back_len208_factors_13_16_wgs_64_tpt_16_halfLds_sp_op_CI_CI_unitstride_sbrr_dirReg
; %bb.0:
	s_load_dwordx4 s[8:11], s[4:5], 0x58
	s_load_dwordx4 s[12:15], s[4:5], 0x0
	;; [unrolled: 1-line block ×3, first 2 shown]
	v_lshrrev_b32_e32 v44, 4, v0
	v_mov_b32_e32 v3, 0
	v_mov_b32_e32 v10, 0
	s_waitcnt lgkmcnt(0)
	v_cmp_lt_u64_e64 s[0:1], s[14:15], 2
	v_lshl_or_b32 v6, s6, 2, v44
	v_mov_b32_e32 v7, v3
	s_and_b64 vcc, exec, s[0:1]
	v_mov_b32_e32 v11, 0
	s_cbranch_vccnz .LBB0_8
; %bb.1:
	s_load_dwordx2 s[0:1], s[4:5], 0x10
	s_add_u32 s2, s18, 8
	s_addc_u32 s3, s19, 0
	s_add_u32 s6, s16, 8
	s_addc_u32 s7, s17, 0
	v_mov_b32_e32 v10, 0
	s_waitcnt lgkmcnt(0)
	s_add_u32 s20, s0, 8
	v_mov_b32_e32 v11, 0
	v_mov_b32_e32 v1, v10
	s_addc_u32 s21, s1, 0
	s_mov_b64 s[22:23], 1
	v_mov_b32_e32 v2, v11
.LBB0_2:                                ; =>This Inner Loop Header: Depth=1
	s_load_dwordx2 s[24:25], s[20:21], 0x0
	s_waitcnt lgkmcnt(0)
	v_or_b32_e32 v4, s25, v7
	v_cmp_ne_u64_e32 vcc, 0, v[3:4]
                                        ; implicit-def: $vgpr4_vgpr5
	s_and_saveexec_b64 s[0:1], vcc
	s_xor_b64 s[26:27], exec, s[0:1]
	s_cbranch_execz .LBB0_4
; %bb.3:                                ;   in Loop: Header=BB0_2 Depth=1
	v_cvt_f32_u32_e32 v4, s24
	v_cvt_f32_u32_e32 v5, s25
	s_sub_u32 s0, 0, s24
	s_subb_u32 s1, 0, s25
	v_mac_f32_e32 v4, 0x4f800000, v5
	v_rcp_f32_e32 v4, v4
	v_mul_f32_e32 v4, 0x5f7ffffc, v4
	v_mul_f32_e32 v5, 0x2f800000, v4
	v_trunc_f32_e32 v5, v5
	v_mac_f32_e32 v4, 0xcf800000, v5
	v_cvt_u32_f32_e32 v5, v5
	v_cvt_u32_f32_e32 v4, v4
	v_mul_lo_u32 v8, s0, v5
	v_mul_hi_u32 v9, s0, v4
	v_mul_lo_u32 v13, s1, v4
	v_mul_lo_u32 v12, s0, v4
	v_add_u32_e32 v8, v9, v8
	v_add_u32_e32 v8, v8, v13
	v_mul_hi_u32 v9, v4, v12
	v_mul_lo_u32 v13, v4, v8
	v_mul_hi_u32 v15, v4, v8
	v_mul_hi_u32 v14, v5, v12
	v_mul_lo_u32 v12, v5, v12
	v_mul_hi_u32 v16, v5, v8
	v_add_co_u32_e32 v9, vcc, v9, v13
	v_addc_co_u32_e32 v13, vcc, 0, v15, vcc
	v_mul_lo_u32 v8, v5, v8
	v_add_co_u32_e32 v9, vcc, v9, v12
	v_addc_co_u32_e32 v9, vcc, v13, v14, vcc
	v_addc_co_u32_e32 v12, vcc, 0, v16, vcc
	v_add_co_u32_e32 v8, vcc, v9, v8
	v_addc_co_u32_e32 v9, vcc, 0, v12, vcc
	v_add_co_u32_e32 v4, vcc, v4, v8
	v_addc_co_u32_e32 v5, vcc, v5, v9, vcc
	v_mul_lo_u32 v8, s0, v5
	v_mul_hi_u32 v9, s0, v4
	v_mul_lo_u32 v12, s1, v4
	v_mul_lo_u32 v13, s0, v4
	v_add_u32_e32 v8, v9, v8
	v_add_u32_e32 v8, v8, v12
	v_mul_lo_u32 v14, v4, v8
	v_mul_hi_u32 v15, v4, v13
	v_mul_hi_u32 v16, v4, v8
	v_mul_hi_u32 v12, v5, v13
	v_mul_lo_u32 v13, v5, v13
	v_mul_hi_u32 v9, v5, v8
	v_add_co_u32_e32 v14, vcc, v15, v14
	v_addc_co_u32_e32 v15, vcc, 0, v16, vcc
	v_mul_lo_u32 v8, v5, v8
	v_add_co_u32_e32 v13, vcc, v14, v13
	v_addc_co_u32_e32 v12, vcc, v15, v12, vcc
	v_addc_co_u32_e32 v9, vcc, 0, v9, vcc
	v_add_co_u32_e32 v8, vcc, v12, v8
	v_addc_co_u32_e32 v9, vcc, 0, v9, vcc
	v_add_co_u32_e32 v8, vcc, v4, v8
	v_addc_co_u32_e32 v9, vcc, v5, v9, vcc
	v_mad_u64_u32 v[4:5], s[0:1], v6, v9, 0
	v_mul_hi_u32 v12, v6, v8
	v_add_co_u32_e32 v12, vcc, v12, v4
	v_addc_co_u32_e32 v13, vcc, 0, v5, vcc
	v_mad_u64_u32 v[4:5], s[0:1], v7, v8, 0
	v_mad_u64_u32 v[8:9], s[0:1], v7, v9, 0
	v_add_co_u32_e32 v4, vcc, v12, v4
	v_addc_co_u32_e32 v4, vcc, v13, v5, vcc
	v_addc_co_u32_e32 v5, vcc, 0, v9, vcc
	v_add_co_u32_e32 v8, vcc, v4, v8
	v_addc_co_u32_e32 v9, vcc, 0, v5, vcc
	v_mul_lo_u32 v12, s25, v8
	v_mul_lo_u32 v13, s24, v9
	v_mad_u64_u32 v[4:5], s[0:1], s24, v8, 0
	v_add3_u32 v5, v5, v13, v12
	v_sub_u32_e32 v12, v7, v5
	v_mov_b32_e32 v13, s25
	v_sub_co_u32_e32 v4, vcc, v6, v4
	v_subb_co_u32_e64 v12, s[0:1], v12, v13, vcc
	v_subrev_co_u32_e64 v13, s[0:1], s24, v4
	v_subbrev_co_u32_e64 v12, s[0:1], 0, v12, s[0:1]
	v_cmp_le_u32_e64 s[0:1], s25, v12
	v_cndmask_b32_e64 v14, 0, -1, s[0:1]
	v_cmp_le_u32_e64 s[0:1], s24, v13
	v_cndmask_b32_e64 v13, 0, -1, s[0:1]
	v_cmp_eq_u32_e64 s[0:1], s25, v12
	v_cndmask_b32_e64 v12, v14, v13, s[0:1]
	v_add_co_u32_e64 v13, s[0:1], 2, v8
	v_addc_co_u32_e64 v14, s[0:1], 0, v9, s[0:1]
	v_add_co_u32_e64 v15, s[0:1], 1, v8
	v_addc_co_u32_e64 v16, s[0:1], 0, v9, s[0:1]
	v_subb_co_u32_e32 v5, vcc, v7, v5, vcc
	v_cmp_ne_u32_e64 s[0:1], 0, v12
	v_cmp_le_u32_e32 vcc, s25, v5
	v_cndmask_b32_e64 v12, v16, v14, s[0:1]
	v_cndmask_b32_e64 v14, 0, -1, vcc
	v_cmp_le_u32_e32 vcc, s24, v4
	v_cndmask_b32_e64 v4, 0, -1, vcc
	v_cmp_eq_u32_e32 vcc, s25, v5
	v_cndmask_b32_e32 v4, v14, v4, vcc
	v_cmp_ne_u32_e32 vcc, 0, v4
	v_cndmask_b32_e64 v4, v15, v13, s[0:1]
	v_cndmask_b32_e32 v5, v9, v12, vcc
	v_cndmask_b32_e32 v4, v8, v4, vcc
.LBB0_4:                                ;   in Loop: Header=BB0_2 Depth=1
	s_andn2_saveexec_b64 s[0:1], s[26:27]
	s_cbranch_execz .LBB0_6
; %bb.5:                                ;   in Loop: Header=BB0_2 Depth=1
	v_cvt_f32_u32_e32 v4, s24
	s_sub_i32 s26, 0, s24
	v_rcp_iflag_f32_e32 v4, v4
	v_mul_f32_e32 v4, 0x4f7ffffe, v4
	v_cvt_u32_f32_e32 v4, v4
	v_mul_lo_u32 v5, s26, v4
	v_mul_hi_u32 v5, v4, v5
	v_add_u32_e32 v4, v4, v5
	v_mul_hi_u32 v4, v6, v4
	v_mul_lo_u32 v5, v4, s24
	v_add_u32_e32 v8, 1, v4
	v_sub_u32_e32 v5, v6, v5
	v_subrev_u32_e32 v9, s24, v5
	v_cmp_le_u32_e32 vcc, s24, v5
	v_cndmask_b32_e32 v5, v5, v9, vcc
	v_cndmask_b32_e32 v4, v4, v8, vcc
	v_add_u32_e32 v8, 1, v4
	v_cmp_le_u32_e32 vcc, s24, v5
	v_cndmask_b32_e32 v4, v4, v8, vcc
	v_mov_b32_e32 v5, v3
.LBB0_6:                                ;   in Loop: Header=BB0_2 Depth=1
	s_or_b64 exec, exec, s[0:1]
	v_mul_lo_u32 v12, v5, s24
	v_mul_lo_u32 v13, v4, s25
	v_mad_u64_u32 v[8:9], s[0:1], v4, s24, 0
	s_load_dwordx2 s[0:1], s[6:7], 0x0
	s_load_dwordx2 s[24:25], s[2:3], 0x0
	v_add3_u32 v9, v9, v13, v12
	v_sub_co_u32_e32 v6, vcc, v6, v8
	v_subb_co_u32_e32 v7, vcc, v7, v9, vcc
	s_waitcnt lgkmcnt(0)
	v_mul_lo_u32 v8, s0, v7
	v_mul_lo_u32 v9, s1, v6
	v_mad_u64_u32 v[10:11], s[0:1], s0, v6, v[10:11]
	v_mul_lo_u32 v7, s24, v7
	v_mul_lo_u32 v12, s25, v6
	v_mad_u64_u32 v[1:2], s[0:1], s24, v6, v[1:2]
	s_add_u32 s22, s22, 1
	s_addc_u32 s23, s23, 0
	s_add_u32 s2, s2, 8
	v_add3_u32 v2, v12, v2, v7
	s_addc_u32 s3, s3, 0
	v_mov_b32_e32 v6, s14
	s_add_u32 s6, s6, 8
	v_mov_b32_e32 v7, s15
	s_addc_u32 s7, s7, 0
	v_cmp_ge_u64_e32 vcc, s[22:23], v[6:7]
	s_add_u32 s20, s20, 8
	v_add3_u32 v11, v9, v11, v8
	s_addc_u32 s21, s21, 0
	s_cbranch_vccnz .LBB0_9
; %bb.7:                                ;   in Loop: Header=BB0_2 Depth=1
	v_mov_b32_e32 v7, v5
	v_mov_b32_e32 v6, v4
	s_branch .LBB0_2
.LBB0_8:
	v_mov_b32_e32 v1, v10
	v_mov_b32_e32 v4, v6
	;; [unrolled: 1-line block ×4, first 2 shown]
.LBB0_9:
	s_load_dwordx2 s[0:1], s[4:5], 0x28
	s_lshl_b64 s[6:7], s[14:15], 3
	s_add_u32 s2, s18, s6
	s_addc_u32 s3, s19, s7
	v_and_b32_e32 v3, 15, v0
	s_waitcnt lgkmcnt(0)
	v_cmp_gt_u64_e32 vcc, s[0:1], v[4:5]
	v_cmp_le_u64_e64 s[0:1], s[0:1], v[4:5]
                                        ; implicit-def: $sgpr14_sgpr15
	s_and_saveexec_b64 s[4:5], s[0:1]
	s_xor_b64 s[0:1], exec, s[4:5]
; %bb.10:
	v_and_b32_e32 v3, 15, v0
	s_mov_b64 s[14:15], 0
                                        ; implicit-def: $vgpr10_vgpr11
; %bb.11:
	s_or_saveexec_b64 s[4:5], s[0:1]
	v_mov_b32_e32 v29, s15
	v_mov_b32_e32 v28, s14
                                        ; implicit-def: $vgpr37
                                        ; implicit-def: $vgpr33
                                        ; implicit-def: $vgpr25
                                        ; implicit-def: $vgpr19
                                        ; implicit-def: $vgpr15
                                        ; implicit-def: $vgpr7
                                        ; implicit-def: $vgpr9
                                        ; implicit-def: $vgpr17
                                        ; implicit-def: $vgpr23
                                        ; implicit-def: $vgpr27
                                        ; implicit-def: $vgpr39
                                        ; implicit-def: $vgpr41
	s_xor_b64 exec, exec, s[4:5]
	s_cbranch_execz .LBB0_13
; %bb.12:
	s_add_u32 s0, s16, s6
	s_addc_u32 s1, s17, s7
	s_load_dwordx2 s[0:1], s[0:1], 0x0
	v_mov_b32_e32 v13, s9
	v_lshlrev_b64 v[8:9], 3, v[10:11]
	s_waitcnt lgkmcnt(0)
	v_mul_lo_u32 v0, s1, v4
	v_mul_lo_u32 v12, s0, v5
	v_mad_u64_u32 v[6:7], s[0:1], s0, v4, 0
	v_add3_u32 v7, v7, v12, v0
	v_lshlrev_b64 v[6:7], 3, v[6:7]
	v_add_co_u32_e64 v0, s[0:1], s8, v6
	v_addc_co_u32_e64 v6, s[0:1], v13, v7, s[0:1]
	v_add_co_u32_e64 v0, s[0:1], v0, v8
	v_addc_co_u32_e64 v6, s[0:1], v6, v9, s[0:1]
	v_lshlrev_b32_e32 v7, 3, v3
	v_add_co_u32_e64 v10, s[0:1], v0, v7
	v_addc_co_u32_e64 v11, s[0:1], 0, v6, s[0:1]
	global_load_dwordx2 v[28:29], v[10:11], off
	global_load_dwordx2 v[36:37], v[10:11], off offset:128
	global_load_dwordx2 v[32:33], v[10:11], off offset:256
	;; [unrolled: 1-line block ×12, first 2 shown]
.LBB0_13:
	s_or_b64 exec, exec, s[4:5]
	s_waitcnt vmcnt(0)
	v_sub_f32_e32 v30, v37, v41
	v_mul_f32_e32 v10, 0xbeedf032, v30
	v_sub_f32_e32 v42, v33, v39
	v_add_f32_e32 v0, v36, v40
	v_mov_b32_e32 v11, v10
	v_mul_f32_e32 v20, 0xbf52af12, v42
	v_fmac_f32_e32 v11, 0x3f62ad3f, v0
	v_add_f32_e32 v31, v32, v38
	v_mov_b32_e32 v12, v20
	v_add_f32_e32 v11, v11, v28
	v_fmac_f32_e32 v12, 0x3f116cb1, v31
	v_mul_f32_e32 v21, 0xbf52af12, v30
	v_add_f32_e32 v11, v12, v11
	v_mov_b32_e32 v12, v21
	v_mul_f32_e32 v34, 0xbf6f5d39, v42
	v_fmac_f32_e32 v12, 0x3f116cb1, v0
	v_mov_b32_e32 v13, v34
	v_sub_f32_e32 v43, v25, v27
	v_add_f32_e32 v12, v12, v28
	v_fmac_f32_e32 v13, 0xbeb58ec6, v31
	v_mul_f32_e32 v35, 0xbf7e222b, v43
	v_add_f32_e32 v12, v13, v12
	v_add_f32_e32 v45, v24, v26
	v_mov_b32_e32 v13, v35
	v_fmac_f32_e32 v13, 0x3df6dbef, v45
	v_mul_f32_e32 v46, 0xbe750f2a, v43
	v_add_f32_e32 v11, v13, v11
	v_mov_b32_e32 v13, v46
	v_sub_f32_e32 v48, v19, v23
	v_fmac_f32_e32 v13, 0xbf788fa5, v45
	v_mul_f32_e32 v49, 0xbf6f5d39, v48
	v_add_f32_e32 v12, v13, v12
	v_add_f32_e32 v47, v18, v22
	v_mov_b32_e32 v13, v49
	v_fmac_f32_e32 v13, 0xbeb58ec6, v47
	v_mul_f32_e32 v50, 0x3f29c268, v48
	v_add_f32_e32 v11, v13, v11
	v_mov_b32_e32 v13, v50
	v_sub_f32_e32 v52, v15, v17
	;; [unrolled: 10-line block ×3, first 2 shown]
	v_fmac_f32_e32 v13, 0x3df6dbef, v51
	v_mul_f32_e32 v57, 0xbe750f2a, v56
	v_add_f32_e32 v13, v13, v12
	v_add_f32_e32 v55, v6, v8
	v_mov_b32_e32 v12, v57
	v_fmac_f32_e32 v12, 0xbf788fa5, v55
	v_mul_f32_e32 v58, 0x3eedf032, v56
	v_add_f32_e32 v12, v12, v11
	v_mov_b32_e32 v11, v58
	s_mov_b32 s9, 0x3f62ad3f
	v_fmac_f32_e32 v11, 0x3f62ad3f, v55
	v_fma_f32 v10, v0, s9, -v10
	s_mov_b32 s8, 0x3f116cb1
	v_add_f32_e32 v13, v11, v13
	v_add_f32_e32 v10, v10, v28
	v_fma_f32 v11, v31, s8, -v20
	v_add_f32_e32 v10, v11, v10
	v_fma_f32 v11, v0, s8, -v21
	s_mov_b32 s7, 0xbeb58ec6
	v_add_f32_e32 v11, v11, v28
	v_fma_f32 v20, v31, s7, -v34
	s_mov_b32 s6, 0x3df6dbef
	v_add_f32_e32 v11, v20, v11
	v_fma_f32 v20, v45, s6, -v35
	s_mov_b32 s15, 0xbf788fa5
	v_add_f32_e32 v10, v20, v10
	v_fma_f32 v20, v45, s15, -v46
	v_add_f32_e32 v11, v20, v11
	v_fma_f32 v20, v47, s7, -v49
	s_mov_b32 s14, 0xbf3f9e67
	v_add_f32_e32 v10, v20, v10
	v_fma_f32 v20, v47, s14, -v50
	v_add_f32_e32 v11, v20, v11
	v_fma_f32 v20, v51, s14, -v53
	;; [unrolled: 2-line block ×5, first 2 shown]
	v_mul_f32_e32 v34, 0xbf7e222b, v30
	v_add_f32_e32 v10, v10, v20
	v_mov_b32_e32 v20, v34
	v_mul_f32_e32 v35, 0xbe750f2a, v42
	v_fmac_f32_e32 v20, 0x3df6dbef, v0
	v_mov_b32_e32 v21, v35
	v_add_f32_e32 v20, v20, v28
	v_fmac_f32_e32 v21, 0xbf788fa5, v31
	v_mul_f32_e32 v46, 0xbf6f5d39, v30
	v_add_f32_e32 v20, v21, v20
	v_mov_b32_e32 v21, v46
	v_mul_f32_e32 v49, 0x3f29c268, v42
	v_fmac_f32_e32 v21, 0xbeb58ec6, v0
	v_mov_b32_e32 v50, v49
	v_add_f32_e32 v21, v21, v28
	v_fmac_f32_e32 v50, 0xbf3f9e67, v31
	v_add_f32_e32 v21, v50, v21
	v_mul_f32_e32 v50, 0x3f6f5d39, v43
	v_mov_b32_e32 v53, v50
	v_fmac_f32_e32 v53, 0xbeb58ec6, v45
	v_add_f32_e32 v20, v53, v20
	v_mul_f32_e32 v53, 0x3eedf032, v43
	v_mov_b32_e32 v54, v53
	;; [unrolled: 4-line block ×4, first 2 shown]
	v_fmac_f32_e32 v58, 0x3df6dbef, v47
	v_fma_f32 v34, v0, s6, -v34
	v_add_f32_e32 v21, v58, v21
	v_mul_f32_e32 v58, 0xbf52af12, v52
	v_add_f32_e32 v34, v34, v28
	v_fma_f32 v35, v31, s15, -v35
	v_mov_b32_e32 v59, v58
	v_add_f32_e32 v34, v35, v34
	v_fma_f32 v35, v0, s7, -v46
	v_fmac_f32_e32 v59, 0x3f116cb1, v51
	v_add_f32_e32 v35, v35, v28
	v_fma_f32 v46, v31, s14, -v49
	v_add_f32_e32 v20, v59, v20
	v_mul_f32_e32 v59, 0x3e750f2a, v52
	v_add_f32_e32 v35, v46, v35
	v_fma_f32 v46, v45, s7, -v50
	v_mov_b32_e32 v60, v59
	v_add_f32_e32 v34, v46, v34
	v_fma_f32 v46, v45, s9, -v53
	v_fmac_f32_e32 v60, 0xbf788fa5, v51
	v_add_f32_e32 v35, v46, v35
	;; [unrolled: 10-line block ×3, first 2 shown]
	v_fma_f32 v46, v51, s15, -v59
	v_add_f32_e32 v20, v61, v20
	v_mul_f32_e32 v61, 0x3f52af12, v56
	v_add_f32_e32 v46, v46, v35
	v_fma_f32 v35, v55, s14, -v60
	v_add_f32_e32 v35, v35, v34
	v_fma_f32 v34, v55, s8, -v61
	v_add_f32_e32 v34, v34, v46
	v_mul_f32_e32 v46, 0xbf29c268, v30
	v_mov_b32_e32 v49, v46
	v_mul_f32_e32 v50, 0x3f7e222b, v42
	v_fmac_f32_e32 v49, 0xbf3f9e67, v0
	v_mov_b32_e32 v53, v50
	v_add_f32_e32 v49, v49, v28
	v_fmac_f32_e32 v53, 0x3df6dbef, v31
	v_mul_f32_e32 v30, 0xbe750f2a, v30
	v_add_f32_e32 v49, v53, v49
	v_mov_b32_e32 v53, v30
	v_mul_f32_e32 v54, 0x3eedf032, v42
	v_fmac_f32_e32 v53, 0xbf788fa5, v0
	v_mov_b32_e32 v42, v54
	v_add_f32_e32 v53, v53, v28
	v_fmac_f32_e32 v42, 0x3f62ad3f, v31
	v_add_f32_e32 v42, v42, v53
	v_mul_f32_e32 v53, 0xbf52af12, v43
	v_mov_b32_e32 v57, v53
	v_fmac_f32_e32 v57, 0x3f116cb1, v45
	v_add_f32_e32 v49, v57, v49
	v_mul_f32_e32 v57, 0xbf29c268, v43
	v_mov_b32_e32 v43, v57
	v_fmac_f32_e32 v43, 0xbf3f9e67, v45
	v_mul_f32_e32 v58, 0x3e750f2a, v48
	v_fma_f32 v46, v0, s14, -v46
	v_fma_f32 v0, v0, s15, -v30
	v_add_f32_e32 v42, v43, v42
	v_mov_b32_e32 v43, v58
	v_add_f32_e32 v30, v46, v28
	v_fma_f32 v46, v31, s6, -v50
	v_fma_f32 v31, v31, s9, -v54
	v_add_f32_e32 v0, v0, v28
	v_fmac_f32_e32 v43, 0xbf788fa5, v47
	v_mul_f32_e32 v48, 0x3f52af12, v48
	v_add_f32_e32 v30, v46, v30
	v_add_f32_e32 v0, v31, v0
	v_fma_f32 v31, v45, s8, -v53
	v_add_f32_e32 v43, v43, v49
	v_mov_b32_e32 v49, v48
	v_add_f32_e32 v30, v31, v30
	v_fma_f32 v31, v45, s14, -v57
	v_fmac_f32_e32 v49, 0x3f116cb1, v47
	v_add_f32_e32 v0, v31, v0
	v_fma_f32 v31, v47, s15, -v58
	v_add_f32_e32 v42, v49, v42
	v_mul_f32_e32 v49, 0x3eedf032, v52
	v_add_f32_e32 v30, v31, v30
	v_fma_f32 v31, v47, s8, -v48
	v_mul_f32_e32 v52, 0xbf6f5d39, v52
	v_add_f32_e32 v0, v31, v0
	v_fma_f32 v31, v51, s9, -v49
	v_mul_f32_e32 v60, 0xbf6f5d39, v56
	v_mul_f32_e32 v56, 0x3f7e222b, v56
	v_add_f32_e32 v30, v31, v30
	v_fma_f32 v31, v51, s7, -v52
	v_add_f32_e32 v0, v31, v0
	v_fma_f32 v31, v55, s7, -v60
	v_fma_f32 v45, v55, s6, -v56
	v_add_f32_e32 v31, v31, v30
	v_add_f32_e32 v30, v45, v0
	;; [unrolled: 1-line block ×5, first 2 shown]
	v_mov_b32_e32 v59, v49
	v_add_f32_e32 v0, v18, v0
	v_fmac_f32_e32 v59, 0x3f62ad3f, v51
	v_add_f32_e32 v0, v14, v0
	v_add_f32_e32 v43, v59, v43
	v_mov_b32_e32 v59, v52
	v_add_f32_e32 v0, v6, v0
	v_fmac_f32_e32 v59, 0xbeb58ec6, v51
	v_add_f32_e32 v0, v8, v0
	v_add_f32_e32 v59, v59, v42
	v_mov_b32_e32 v42, v60
	s_load_dwordx2 s[4:5], s[2:3], 0x0
	v_add_f32_e32 v0, v16, v0
	v_fmac_f32_e32 v42, 0xbeb58ec6, v55
	v_add_f32_e32 v0, v22, v0
	v_mov_b32_e32 v62, v61
	v_add_f32_e32 v42, v42, v43
	v_mov_b32_e32 v43, v56
	v_add_f32_e32 v0, v26, v0
	v_fmac_f32_e32 v62, 0x3f116cb1, v55
	v_fmac_f32_e32 v43, 0x3df6dbef, v55
	v_mul_u32_u24_e32 v44, 0xd0, v44
	v_add_f32_e32 v0, v38, v0
	v_mad_u32_u24 v28, v3, 52, 0
	v_add_f32_e32 v21, v62, v21
	v_add_f32_e32 v43, v43, v59
	;; [unrolled: 1-line block ×3, first 2 shown]
	v_lshl_add_u32 v49, v44, 2, v28
	v_cmp_gt_u32_e64 s[0:1], 13, v3
	v_lshlrev_b32_e32 v47, 2, v44
	v_lshlrev_b32_e32 v48, 2, v3
	ds_write2_b32 v49, v0, v12 offset1:1
	ds_write2_b32 v49, v13, v20 offset0:2 offset1:3
	ds_write2_b32 v49, v21, v42 offset0:4 offset1:5
	;; [unrolled: 1-line block ×5, first 2 shown]
	ds_write_b32 v49, v11 offset:48
	s_waitcnt lgkmcnt(0)
	; wave barrier
	s_waitcnt lgkmcnt(0)
                                        ; implicit-def: $vgpr46
                                        ; implicit-def: $vgpr44
	s_and_saveexec_b64 s[2:3], s[0:1]
	s_cbranch_execz .LBB0_15
; %bb.14:
	v_mul_i32_i24_e32 v10, 0xffffffd0, v3
	v_add3_u32 v0, 0, v47, v48
	v_add3_u32 v28, v28, v10, v47
	ds_read2_b32 v[12:13], v28 offset0:13 offset1:26
	ds_read2_b32 v[20:21], v28 offset0:39 offset1:52
	;; [unrolled: 1-line block ×7, first 2 shown]
	ds_read_b32 v0, v0
	ds_read_b32 v46, v28 offset:780
.LBB0_15:
	s_or_b64 exec, exec, s[2:3]
	v_add_f32_e32 v28, v37, v29
	v_add_f32_e32 v28, v33, v28
	;; [unrolled: 1-line block ×10, first 2 shown]
	v_sub_f32_e32 v36, v36, v40
	v_add_f32_e32 v28, v39, v28
	v_add_f32_e32 v37, v37, v41
	v_mul_f32_e32 v40, 0xbeedf032, v36
	v_mul_f32_e32 v50, 0xbf52af12, v36
	;; [unrolled: 1-line block ×6, first 2 shown]
	v_add_f32_e32 v28, v41, v28
	v_fma_f32 v41, v37, s9, -v40
	v_fmac_f32_e32 v40, 0x3f62ad3f, v37
	v_fma_f32 v51, v37, s8, -v50
	v_fmac_f32_e32 v50, 0x3f116cb1, v37
	v_fma_f32 v53, v37, s6, -v52
	v_fmac_f32_e32 v52, 0x3df6dbef, v37
	v_fma_f32 v55, v37, s7, -v54
	v_fmac_f32_e32 v54, 0xbeb58ec6, v37
	v_fma_f32 v57, v37, s14, -v56
	v_fmac_f32_e32 v56, 0xbf3f9e67, v37
	v_fma_f32 v58, v37, s15, -v36
	v_fmac_f32_e32 v36, 0xbf788fa5, v37
	v_sub_f32_e32 v32, v32, v38
	v_add_f32_e32 v41, v41, v29
	v_add_f32_e32 v40, v40, v29
	;; [unrolled: 1-line block ×13, first 2 shown]
	v_mul_f32_e32 v36, 0xbf52af12, v32
	v_fma_f32 v37, v33, s8, -v36
	v_fmac_f32_e32 v36, 0x3f116cb1, v33
	v_mul_f32_e32 v38, 0xbf6f5d39, v32
	v_add_f32_e32 v36, v36, v40
	v_fma_f32 v39, v33, s7, -v38
	v_fmac_f32_e32 v38, 0xbeb58ec6, v33
	v_mul_f32_e32 v40, 0xbe750f2a, v32
	v_add_f32_e32 v37, v37, v41
	v_add_f32_e32 v38, v38, v50
	v_fma_f32 v41, v33, s15, -v40
	v_fmac_f32_e32 v40, 0xbf788fa5, v33
	v_mul_f32_e32 v50, 0x3f29c268, v32
	v_add_f32_e32 v39, v39, v51
	v_add_f32_e32 v40, v40, v52
	v_fma_f32 v51, v33, s14, -v50
	v_fmac_f32_e32 v50, 0xbf3f9e67, v33
	v_mul_f32_e32 v52, 0x3f7e222b, v32
	v_mul_f32_e32 v32, 0x3eedf032, v32
	v_sub_f32_e32 v24, v24, v26
	v_add_f32_e32 v50, v50, v54
	v_fma_f32 v54, v33, s9, -v32
	v_fmac_f32_e32 v32, 0x3f62ad3f, v33
	v_add_f32_e32 v25, v25, v27
	v_mul_f32_e32 v26, 0xbf7e222b, v24
	v_add_f32_e32 v29, v32, v29
	v_fma_f32 v27, v25, s6, -v26
	v_fmac_f32_e32 v26, 0x3df6dbef, v25
	v_mul_f32_e32 v32, 0xbe750f2a, v24
	v_add_f32_e32 v41, v41, v53
	v_fma_f32 v53, v33, s6, -v52
	v_fmac_f32_e32 v52, 0x3df6dbef, v33
	v_add_f32_e32 v26, v26, v36
	v_fma_f32 v33, v25, s15, -v32
	v_fmac_f32_e32 v32, 0xbf788fa5, v25
	v_mul_f32_e32 v36, 0x3f6f5d39, v24
	v_add_f32_e32 v27, v27, v37
	v_add_f32_e32 v32, v32, v38
	v_fma_f32 v37, v25, s7, -v36
	v_fmac_f32_e32 v36, 0xbeb58ec6, v25
	v_mul_f32_e32 v38, 0x3eedf032, v24
	v_sub_f32_e32 v18, v18, v22
	v_add_f32_e32 v33, v33, v39
	v_add_f32_e32 v36, v36, v40
	v_fma_f32 v39, v25, s9, -v38
	v_fmac_f32_e32 v38, 0x3f62ad3f, v25
	v_mul_f32_e32 v40, 0xbf52af12, v24
	v_mul_f32_e32 v24, 0xbf29c268, v24
	v_add_f32_e32 v19, v19, v23
	v_mul_f32_e32 v22, 0xbf6f5d39, v18
	v_add_f32_e32 v37, v37, v41
	v_add_f32_e32 v38, v38, v50
	v_fma_f32 v41, v25, s8, -v40
	v_fmac_f32_e32 v40, 0x3f116cb1, v25
	v_fma_f32 v50, v25, s14, -v24
	v_fmac_f32_e32 v24, 0xbf3f9e67, v25
	v_fma_f32 v23, v19, s7, -v22
	v_fmac_f32_e32 v22, 0xbeb58ec6, v19
	v_mul_f32_e32 v25, 0x3f29c268, v18
	v_add_f32_e32 v23, v23, v27
	v_add_f32_e32 v22, v22, v26
	v_fma_f32 v26, v19, s14, -v25
	v_fmac_f32_e32 v25, 0xbf3f9e67, v19
	v_mul_f32_e32 v27, 0x3eedf032, v18
	v_sub_f32_e32 v14, v14, v16
	v_add_f32_e32 v24, v24, v29
	v_add_f32_e32 v25, v25, v32
	v_fma_f32 v29, v19, s9, -v27
	v_fmac_f32_e32 v27, 0x3f62ad3f, v19
	v_mul_f32_e32 v32, 0xbf7e222b, v18
	v_add_f32_e32 v15, v15, v17
	v_mul_f32_e32 v16, 0xbf29c268, v14
	v_add_f32_e32 v26, v26, v33
	v_add_f32_e32 v27, v27, v36
	v_fma_f32 v33, v19, s6, -v32
	v_fmac_f32_e32 v32, 0x3df6dbef, v19
	v_mul_f32_e32 v36, 0x3e750f2a, v18
	v_mul_f32_e32 v18, 0x3f52af12, v18
	v_fma_f32 v17, v15, s14, -v16
	v_fmac_f32_e32 v16, 0xbf3f9e67, v15
	v_add_f32_e32 v29, v29, v37
	v_add_f32_e32 v32, v32, v38
	v_fma_f32 v37, v19, s15, -v36
	v_fmac_f32_e32 v36, 0xbf788fa5, v19
	v_fma_f32 v38, v19, s8, -v18
	v_fmac_f32_e32 v18, 0x3f116cb1, v19
	v_add_f32_e32 v19, v16, v22
	v_mul_f32_e32 v16, 0x3f7e222b, v14
	v_fma_f32 v22, v15, s6, -v16
	v_fmac_f32_e32 v16, 0x3df6dbef, v15
	v_add_f32_e32 v17, v17, v23
	v_add_f32_e32 v23, v16, v25
	v_mul_f32_e32 v16, 0xbf52af12, v14
	v_add_f32_e32 v18, v18, v24
	v_fma_f32 v24, v15, s8, -v16
	v_fmac_f32_e32 v16, 0x3f116cb1, v15
	v_add_f32_e32 v25, v16, v27
	v_mul_f32_e32 v16, 0x3e750f2a, v14
	v_add_f32_e32 v53, v53, v57
	v_add_f32_e32 v22, v22, v26
	v_fma_f32 v26, v15, s15, -v16
	v_fmac_f32_e32 v16, 0xbf788fa5, v15
	v_add_f32_e32 v52, v52, v56
	v_add_f32_e32 v41, v41, v53
	;; [unrolled: 1-line block ×3, first 2 shown]
	v_mul_f32_e32 v16, 0x3eedf032, v14
	v_add_f32_e32 v51, v51, v55
	v_add_f32_e32 v54, v54, v58
	v_add_f32_e32 v40, v40, v52
	v_add_f32_e32 v37, v37, v41
	v_add_f32_e32 v24, v24, v29
	v_fma_f32 v29, v15, s9, -v16
	v_sub_f32_e32 v8, v6, v8
	v_add_f32_e32 v39, v39, v51
	v_add_f32_e32 v50, v50, v54
	;; [unrolled: 1-line block ×4, first 2 shown]
	v_fmac_f32_e32 v16, 0x3f62ad3f, v15
	v_mul_f32_e32 v14, 0xbf6f5d39, v14
	v_add_f32_e32 v37, v7, v9
	v_mul_f32_e32 v6, 0xbe750f2a, v8
	v_add_f32_e32 v33, v33, v39
	v_add_f32_e32 v38, v38, v50
	;; [unrolled: 1-line block ×3, first 2 shown]
	v_fma_f32 v16, v15, s7, -v14
	v_fma_f32 v7, v37, s15, -v6
	v_fmac_f32_e32 v6, 0xbf788fa5, v37
	v_add_f32_e32 v26, v26, v33
	v_add_f32_e32 v33, v16, v38
	;; [unrolled: 1-line block ×4, first 2 shown]
	v_mul_f32_e32 v6, 0x3eedf032, v8
	v_fma_f32 v9, v37, s9, -v6
	v_fmac_f32_e32 v14, 0xbeb58ec6, v15
	v_add_f32_e32 v17, v9, v22
	v_mul_f32_e32 v9, 0xbf29c268, v8
	v_add_f32_e32 v36, v14, v18
	v_fma_f32 v14, v37, s14, -v9
	v_fmac_f32_e32 v9, 0xbf3f9e67, v37
	v_add_f32_e32 v19, v9, v25
	v_mul_f32_e32 v9, 0x3f52af12, v8
	v_fma_f32 v15, v37, s8, -v9
	v_fmac_f32_e32 v9, 0x3f116cb1, v37
	v_fmac_f32_e32 v6, 0x3f62ad3f, v37
	v_add_f32_e32 v18, v9, v27
	v_mul_f32_e32 v9, 0xbf6f5d39, v8
	v_mul_f32_e32 v8, 0x3f7e222b, v8
	v_add_f32_e32 v6, v6, v23
	v_fma_f32 v22, v37, s7, -v9
	v_fmac_f32_e32 v9, 0xbeb58ec6, v37
	v_fma_f32 v23, v37, s6, -v8
	v_fmac_f32_e32 v8, 0x3df6dbef, v37
	v_add_f32_e32 v14, v14, v24
	v_add_f32_e32 v15, v15, v26
	;; [unrolled: 1-line block ×6, first 2 shown]
	s_waitcnt lgkmcnt(0)
	; wave barrier
	s_waitcnt lgkmcnt(0)
	ds_write2_b32 v49, v28, v16 offset1:1
	ds_write2_b32 v49, v17, v14 offset0:2 offset1:3
	ds_write2_b32 v49, v15, v22 offset0:4 offset1:5
	;; [unrolled: 1-line block ×5, first 2 shown]
	ds_write_b32 v49, v7 offset:48
	s_waitcnt lgkmcnt(0)
	; wave barrier
	s_waitcnt lgkmcnt(0)
                                        ; implicit-def: $vgpr24
                                        ; implicit-def: $vgpr26
	s_and_saveexec_b64 s[2:3], s[0:1]
	s_cbranch_execz .LBB0_17
; %bb.16:
	v_add3_u32 v26, 0, v47, v48
	v_add3_u32 v27, 0, v48, v47
	ds_read2_b32 v[16:17], v27 offset0:13 offset1:26
	ds_read2_b32 v[14:15], v27 offset0:39 offset1:52
	;; [unrolled: 1-line block ×7, first 2 shown]
	ds_read_b32 v28, v26
	ds_read_b32 v26, v27 offset:780
.LBB0_17:
	s_or_b64 exec, exec, s[2:3]
	v_cmp_gt_u32_e64 s[2:3], 13, v3
	s_and_b64 s[2:3], vcc, s[2:3]
	s_and_saveexec_b64 s[6:7], s[2:3]
	s_cbranch_execz .LBB0_19
; %bb.18:
	v_add_u32_e32 v27, -13, v3
	v_cndmask_b32_e64 v27, v27, v3, s[0:1]
	v_mul_i32_i24_e32 v32, 15, v27
	v_mov_b32_e32 v33, 0
	v_lshlrev_b64 v[36:37], 3, v[32:33]
	v_mov_b32_e32 v27, s13
	v_add_co_u32_e32 v55, vcc, s12, v36
	v_addc_co_u32_e32 v56, vcc, v27, v37, vcc
	global_load_dwordx4 v[36:39], v[55:56], off offset:32
	global_load_dwordx4 v[47:50], v[55:56], off offset:96
	;; [unrolled: 1-line block ×3, first 2 shown]
	global_load_dwordx2 v[57:58], v[55:56], off offset:112
	v_mul_lo_u32 v5, s4, v5
	s_waitcnt vmcnt(3) lgkmcnt(6)
	v_mul_f32_e32 v32, v22, v37
	v_mul_f32_e32 v27, v23, v39
	;; [unrolled: 1-line block ×4, first 2 shown]
	v_fmac_f32_e32 v32, v42, v36
	global_load_dwordx4 v[39:42], v[55:56], off
	v_fma_f32 v29, v23, v38, -v29
	v_fma_f32 v59, v22, v36, -v37
	s_waitcnt vmcnt(3) lgkmcnt(2)
	v_mul_f32_e32 v60, v25, v50
	v_mul_f32_e32 v22, v45, v50
	;; [unrolled: 1-line block ×4, first 2 shown]
	v_fmac_f32_e32 v60, v45, v49
	v_fma_f32 v45, v25, v49, -v22
	v_fmac_f32_e32 v50, v44, v47
	v_fma_f32 v44, v24, v47, -v23
	global_load_dwordx4 v[22:25], v[55:56], off offset:16
	v_fmac_f32_e32 v27, v43, v38
	v_mul_lo_u32 v49, s5, v4
	s_waitcnt vmcnt(1)
	v_mul_f32_e32 v36, v13, v42
	v_mul_f32_e32 v47, v17, v42
	;; [unrolled: 1-line block ×4, first 2 shown]
	v_fma_f32 v17, v17, v41, -v36
	v_fmac_f32_e32 v47, v13, v41
	v_fma_f32 v16, v16, v39, -v37
	v_fmac_f32_e32 v48, v12, v39
	global_load_dwordx4 v[36:39], v[55:56], off offset:64
	global_load_dwordx4 v[40:43], v[55:56], off offset:80
	v_mad_u64_u32 v[12:13], s[0:1], s4, v4, 0
	v_add3_u32 v13, v13, v5, v49
	s_waitcnt vmcnt(1)
	v_mul_f32_e32 v4, v35, v39
	v_mul_f32_e32 v5, v34, v37
	v_fma_f32 v4, v19, v38, -v4
	v_fma_f32 v5, v18, v36, -v5
	v_mul_f32_e32 v19, v19, v39
	v_mul_f32_e32 v18, v18, v37
	v_fmac_f32_e32 v19, v35, v38
	v_fmac_f32_e32 v18, v34, v36
	v_mul_f32_e32 v35, v15, v25
	s_waitcnt vmcnt(0)
	v_mul_f32_e32 v36, v7, v43
	s_waitcnt lgkmcnt(0)
	v_mul_f32_e32 v39, v26, v58
	v_mul_f32_e32 v25, v21, v25
	v_fmac_f32_e32 v35, v21, v24
	v_fmac_f32_e32 v36, v11, v42
	v_mul_f32_e32 v37, v20, v23
	v_mul_f32_e32 v38, v10, v41
	v_fmac_f32_e32 v39, v46, v57
	v_mul_f32_e32 v46, v46, v58
	v_mul_f32_e32 v23, v14, v23
	v_fma_f32 v15, v15, v24, -v25
	v_sub_f32_e32 v24, v35, v36
	v_sub_f32_e32 v36, v16, v5
	v_mul_f32_e32 v5, v6, v41
	v_fma_f32 v26, v26, v57, -v46
	v_mul_f32_e32 v46, v8, v52
	v_fma_f32 v21, v6, v40, -v38
	v_fmac_f32_e32 v23, v20, v22
	v_fmac_f32_e32 v5, v10, v40
	v_mul_f32_e32 v6, v11, v43
	v_mul_f32_e32 v34, v31, v54
	v_fmac_f32_e32 v46, v30, v51
	v_mul_f32_e32 v10, v30, v52
	v_sub_f32_e32 v30, v23, v5
	v_fma_f32 v5, v7, v42, -v6
	v_mul_f32_e32 v7, v9, v54
	v_fma_f32 v34, v9, v53, -v34
	v_fmac_f32_e32 v7, v31, v53
	v_fma_f32 v14, v14, v22, -v37
	v_sub_f32_e32 v22, v28, v34
	v_sub_f32_e32 v9, v15, v5
	;; [unrolled: 1-line block ×5, first 2 shown]
	v_add_f32_e32 v43, v31, v9
	v_fma_f32 v28, v28, 2.0, -v22
	v_fma_f32 v9, v15, 2.0, -v9
	v_sub_f32_e32 v4, v17, v4
	v_fma_f32 v11, v8, v51, -v10
	v_sub_f32_e32 v10, v59, v44
	v_sub_f32_e32 v51, v28, v9
	v_fma_f32 v47, v47, 2.0, -v19
	v_fma_f32 v9, v27, 2.0, -v20
	v_sub_f32_e32 v34, v46, v39
	v_sub_f32_e32 v38, v4, v20
	;; [unrolled: 1-line block ×3, first 2 shown]
	v_fma_f32 v27, v16, 2.0, -v36
	v_fma_f32 v9, v59, 2.0, -v10
	v_sub_f32_e32 v21, v14, v21
	v_sub_f32_e32 v37, v32, v50
	;; [unrolled: 1-line block ×4, first 2 shown]
	v_fma_f32 v23, v23, 2.0, -v30
	v_fma_f32 v9, v46, 2.0, -v34
	v_sub_f32_e32 v39, v22, v24
	v_sub_f32_e32 v49, v21, v34
	;; [unrolled: 1-line block ×5, first 2 shown]
	v_fma_f32 v54, v14, 2.0, -v21
	v_fma_f32 v9, v11, 2.0, -v26
	v_sub_f32_e32 v25, v29, v45
	v_mov_b32_e32 v55, v39
	v_mov_b32_e32 v56, v50
	v_add_f32_e32 v40, v30, v26
	v_add_f32_e32 v41, v18, v10
	v_sub_f32_e32 v11, v54, v9
	v_fma_f32 v26, v48, 2.0, -v18
	v_fma_f32 v9, v32, 2.0, -v37
	v_add_f32_e32 v45, v19, v25
	v_fmac_f32_e32 v55, 0x3f3504f3, v38
	v_fmac_f32_e32 v56, 0x3f3504f3, v49
	v_mov_b32_e32 v42, v41
	v_mov_b32_e32 v44, v43
	v_sub_f32_e32 v32, v26, v9
	v_fma_f32 v48, v17, 2.0, -v4
	v_fma_f32 v9, v29, 2.0, -v25
	;; [unrolled: 1-line block ×3, first 2 shown]
	v_fmac_f32_e32 v55, 0xbf3504f3, v45
	v_fmac_f32_e32 v56, 0xbf3504f3, v40
	;; [unrolled: 1-line block ×4, first 2 shown]
	v_sub_f32_e32 v25, v48, v9
	v_fma_f32 v0, v0, 2.0, -v31
	v_fma_f32 v9, v35, 2.0, -v24
	;; [unrolled: 1-line block ×4, first 2 shown]
	v_mov_b32_e32 v45, v36
	v_fma_f32 v21, v30, 2.0, -v40
	v_fma_f32 v40, v18, 2.0, -v41
	;; [unrolled: 1-line block ×3, first 2 shown]
	v_fmac_f32_e32 v42, 0x3f3504f3, v49
	v_sub_f32_e32 v35, v0, v9
	v_fma_f32 v58, v22, 2.0, -v39
	v_fmac_f32_e32 v45, 0xbf3504f3, v19
	v_mov_b32_e32 v49, v40
	v_mov_b32_e32 v60, v59
	v_fma_f32 v24, v39, 2.0, -v55
	v_fmac_f32_e32 v44, 0x3f3504f3, v38
	v_add_f32_e32 v57, v25, v35
	v_fma_f32 v4, v4, 2.0, -v38
	v_mov_b32_e32 v38, v58
	v_fmac_f32_e32 v45, 0xbf3504f3, v21
	v_fmac_f32_e32 v49, 0xbf3504f3, v21
	v_fmac_f32_e32 v60, 0xbf3504f3, v16
	v_fma_f32 v21, v48, 2.0, -v25
	v_fma_f32 v61, v26, 2.0, -v32
	;; [unrolled: 1-line block ×3, first 2 shown]
	v_mov_b32_e32 v25, v24
	v_fmac_f32_e32 v38, 0xbf3504f3, v4
	v_fmac_f32_e32 v60, 0x3f3504f3, v4
	v_fma_f32 v4, v28, 2.0, -v51
	v_fmac_f32_e32 v25, 0xbec3ef15, v26
	v_fma_f32 v28, v41, 2.0, -v42
	;; [unrolled: 2-line block ×3, first 2 shown]
	v_fma_f32 v63, v27, 2.0, -v53
	v_fma_f32 v27, v24, 2.0, -v25
	v_mov_b32_e32 v24, v29
	v_sub_f32_e32 v52, v51, v20
	v_fmac_f32_e32 v24, 0xbec3ef15, v28
	v_sub_f32_e32 v46, v53, v34
	v_fmac_f32_e32 v24, 0x3f6c835e, v26
	v_fma_f32 v28, v51, 2.0, -v52
	v_add_f32_e32 v37, v11, v32
	v_fma_f32 v26, v29, 2.0, -v24
	v_fma_f32 v30, v53, 2.0, -v46
	v_mov_b32_e32 v29, v28
	v_fmac_f32_e32 v29, 0xbf3504f3, v30
	v_fma_f32 v32, v32, 2.0, -v37
	v_fmac_f32_e32 v38, 0xbf3504f3, v16
	v_sub_f32_e32 v48, v4, v21
	v_fma_f32 v21, v23, 2.0, -v34
	v_fmac_f32_e32 v29, 0xbf3504f3, v32
	v_fma_f32 v34, v35, 2.0, -v57
	v_mov_b32_e32 v17, v38
	v_fma_f32 v31, v28, 2.0, -v29
	v_mov_b32_e32 v28, v34
	v_fmac_f32_e32 v17, 0x3ec3ef15, v45
	v_fmac_f32_e32 v49, 0x3f3504f3, v19
	;; [unrolled: 1-line block ×3, first 2 shown]
	v_fma_f32 v32, v58, 2.0, -v38
	v_fmac_f32_e32 v17, 0xbf6c835e, v49
	v_fma_f32 v0, v0, 2.0, -v35
	v_fma_f32 v20, v47, 2.0, -v20
	;; [unrolled: 1-line block ×4, first 2 shown]
	v_mov_b32_e32 v35, v32
	v_mov_b32_e32 v10, v52
	v_fma_f32 v19, v38, 2.0, -v17
	v_sub_f32_e32 v47, v0, v20
	v_sub_f32_e32 v11, v63, v11
	v_fmac_f32_e32 v35, 0xbf6c835e, v36
	v_fma_f32 v38, v40, 2.0, -v49
	v_fmac_f32_e32 v10, 0x3f3504f3, v46
	v_mov_b32_e32 v9, v57
	v_add_f32_e32 v20, v47, v11
	v_fmac_f32_e32 v35, 0xbec3ef15, v38
	v_fma_f32 v4, v4, 2.0, -v48
	v_fma_f32 v11, v63, 2.0, -v11
	v_fmac_f32_e32 v10, 0xbf3504f3, v37
	v_fmac_f32_e32 v9, 0x3f3504f3, v37
	v_sub_f32_e32 v62, v61, v21
	v_fmac_f32_e32 v28, 0x3f3504f3, v30
	v_fma_f32 v37, v32, 2.0, -v35
	v_fma_f32 v32, v59, 2.0, -v60
	v_sub_f32_e32 v39, v4, v11
	v_fma_f32 v30, v34, 2.0, -v28
	v_mov_b32_e32 v34, v32
	v_fma_f32 v41, v4, 2.0, -v39
	v_fma_f32 v0, v0, 2.0, -v47
	;; [unrolled: 1-line block ×3, first 2 shown]
	v_lshlrev_b64 v[11:12], 3, v[12:13]
	v_fmac_f32_e32 v34, 0xbf6c835e, v38
	v_sub_f32_e32 v38, v0, v4
	v_fma_f32 v40, v0, 2.0, -v38
	v_mov_b32_e32 v0, s11
	v_add_co_u32_e32 v11, vcc, s10, v11
	v_addc_co_u32_e32 v12, vcc, v0, v12, vcc
	v_lshlrev_b64 v[0:1], 3, v[1:2]
	v_mov_b32_e32 v4, v33
	v_add_co_u32_e32 v2, vcc, v11, v0
	v_addc_co_u32_e32 v11, vcc, v12, v1, vcc
	v_lshlrev_b64 v[0:1], 3, v[3:4]
	v_mov_b32_e32 v6, v55
	v_mov_b32_e32 v5, v44
	;; [unrolled: 1-line block ×3, first 2 shown]
	v_fmac_f32_e32 v6, 0x3f6c835e, v56
	v_fmac_f32_e32 v5, 0x3f6c835e, v42
	;; [unrolled: 1-line block ×3, first 2 shown]
	v_add_co_u32_e32 v0, vcc, v2, v0
	v_fmac_f32_e32 v6, 0xbec3ef15, v42
	v_fmac_f32_e32 v5, 0x3ec3ef15, v56
	;; [unrolled: 1-line block ×4, first 2 shown]
	v_sub_f32_e32 v21, v48, v62
	v_fmac_f32_e32 v34, 0x3ec3ef15, v36
	v_addc_co_u32_e32 v1, vcc, v11, v1, vcc
	v_fma_f32 v8, v55, 2.0, -v6
	v_fma_f32 v7, v44, 2.0, -v5
	;; [unrolled: 1-line block ×8, first 2 shown]
	global_store_dwordx2 v[0:1], v[40:41], off
	global_store_dwordx2 v[0:1], v[36:37], off offset:104
	global_store_dwordx2 v[0:1], v[30:31], off offset:208
	;; [unrolled: 1-line block ×15, first 2 shown]
.LBB0_19:
	s_endpgm
	.section	.rodata,"a",@progbits
	.p2align	6, 0x0
	.amdhsa_kernel fft_rtc_back_len208_factors_13_16_wgs_64_tpt_16_halfLds_sp_op_CI_CI_unitstride_sbrr_dirReg
		.amdhsa_group_segment_fixed_size 0
		.amdhsa_private_segment_fixed_size 0
		.amdhsa_kernarg_size 104
		.amdhsa_user_sgpr_count 6
		.amdhsa_user_sgpr_private_segment_buffer 1
		.amdhsa_user_sgpr_dispatch_ptr 0
		.amdhsa_user_sgpr_queue_ptr 0
		.amdhsa_user_sgpr_kernarg_segment_ptr 1
		.amdhsa_user_sgpr_dispatch_id 0
		.amdhsa_user_sgpr_flat_scratch_init 0
		.amdhsa_user_sgpr_private_segment_size 0
		.amdhsa_uses_dynamic_stack 0
		.amdhsa_system_sgpr_private_segment_wavefront_offset 0
		.amdhsa_system_sgpr_workgroup_id_x 1
		.amdhsa_system_sgpr_workgroup_id_y 0
		.amdhsa_system_sgpr_workgroup_id_z 0
		.amdhsa_system_sgpr_workgroup_info 0
		.amdhsa_system_vgpr_workitem_id 0
		.amdhsa_next_free_vgpr 64
		.amdhsa_next_free_sgpr 28
		.amdhsa_reserve_vcc 1
		.amdhsa_reserve_flat_scratch 0
		.amdhsa_float_round_mode_32 0
		.amdhsa_float_round_mode_16_64 0
		.amdhsa_float_denorm_mode_32 3
		.amdhsa_float_denorm_mode_16_64 3
		.amdhsa_dx10_clamp 1
		.amdhsa_ieee_mode 1
		.amdhsa_fp16_overflow 0
		.amdhsa_exception_fp_ieee_invalid_op 0
		.amdhsa_exception_fp_denorm_src 0
		.amdhsa_exception_fp_ieee_div_zero 0
		.amdhsa_exception_fp_ieee_overflow 0
		.amdhsa_exception_fp_ieee_underflow 0
		.amdhsa_exception_fp_ieee_inexact 0
		.amdhsa_exception_int_div_zero 0
	.end_amdhsa_kernel
	.text
.Lfunc_end0:
	.size	fft_rtc_back_len208_factors_13_16_wgs_64_tpt_16_halfLds_sp_op_CI_CI_unitstride_sbrr_dirReg, .Lfunc_end0-fft_rtc_back_len208_factors_13_16_wgs_64_tpt_16_halfLds_sp_op_CI_CI_unitstride_sbrr_dirReg
                                        ; -- End function
	.section	.AMDGPU.csdata,"",@progbits
; Kernel info:
; codeLenInByte = 6228
; NumSgprs: 32
; NumVgprs: 64
; ScratchSize: 0
; MemoryBound: 0
; FloatMode: 240
; IeeeMode: 1
; LDSByteSize: 0 bytes/workgroup (compile time only)
; SGPRBlocks: 3
; VGPRBlocks: 15
; NumSGPRsForWavesPerEU: 32
; NumVGPRsForWavesPerEU: 64
; Occupancy: 4
; WaveLimiterHint : 1
; COMPUTE_PGM_RSRC2:SCRATCH_EN: 0
; COMPUTE_PGM_RSRC2:USER_SGPR: 6
; COMPUTE_PGM_RSRC2:TRAP_HANDLER: 0
; COMPUTE_PGM_RSRC2:TGID_X_EN: 1
; COMPUTE_PGM_RSRC2:TGID_Y_EN: 0
; COMPUTE_PGM_RSRC2:TGID_Z_EN: 0
; COMPUTE_PGM_RSRC2:TIDIG_COMP_CNT: 0
	.type	__hip_cuid_a6f02ba33d269903,@object ; @__hip_cuid_a6f02ba33d269903
	.section	.bss,"aw",@nobits
	.globl	__hip_cuid_a6f02ba33d269903
__hip_cuid_a6f02ba33d269903:
	.byte	0                               ; 0x0
	.size	__hip_cuid_a6f02ba33d269903, 1

	.ident	"AMD clang version 19.0.0git (https://github.com/RadeonOpenCompute/llvm-project roc-6.4.0 25133 c7fe45cf4b819c5991fe208aaa96edf142730f1d)"
	.section	".note.GNU-stack","",@progbits
	.addrsig
	.addrsig_sym __hip_cuid_a6f02ba33d269903
	.amdgpu_metadata
---
amdhsa.kernels:
  - .args:
      - .actual_access:  read_only
        .address_space:  global
        .offset:         0
        .size:           8
        .value_kind:     global_buffer
      - .offset:         8
        .size:           8
        .value_kind:     by_value
      - .actual_access:  read_only
        .address_space:  global
        .offset:         16
        .size:           8
        .value_kind:     global_buffer
      - .actual_access:  read_only
        .address_space:  global
        .offset:         24
        .size:           8
        .value_kind:     global_buffer
      - .actual_access:  read_only
        .address_space:  global
        .offset:         32
        .size:           8
        .value_kind:     global_buffer
      - .offset:         40
        .size:           8
        .value_kind:     by_value
      - .actual_access:  read_only
        .address_space:  global
        .offset:         48
        .size:           8
        .value_kind:     global_buffer
      - .actual_access:  read_only
        .address_space:  global
        .offset:         56
        .size:           8
        .value_kind:     global_buffer
      - .offset:         64
        .size:           4
        .value_kind:     by_value
      - .actual_access:  read_only
        .address_space:  global
        .offset:         72
        .size:           8
        .value_kind:     global_buffer
      - .actual_access:  read_only
        .address_space:  global
        .offset:         80
        .size:           8
        .value_kind:     global_buffer
      - .actual_access:  read_only
        .address_space:  global
        .offset:         88
        .size:           8
        .value_kind:     global_buffer
      - .actual_access:  write_only
        .address_space:  global
        .offset:         96
        .size:           8
        .value_kind:     global_buffer
    .group_segment_fixed_size: 0
    .kernarg_segment_align: 8
    .kernarg_segment_size: 104
    .language:       OpenCL C
    .language_version:
      - 2
      - 0
    .max_flat_workgroup_size: 64
    .name:           fft_rtc_back_len208_factors_13_16_wgs_64_tpt_16_halfLds_sp_op_CI_CI_unitstride_sbrr_dirReg
    .private_segment_fixed_size: 0
    .sgpr_count:     32
    .sgpr_spill_count: 0
    .symbol:         fft_rtc_back_len208_factors_13_16_wgs_64_tpt_16_halfLds_sp_op_CI_CI_unitstride_sbrr_dirReg.kd
    .uniform_work_group_size: 1
    .uses_dynamic_stack: false
    .vgpr_count:     64
    .vgpr_spill_count: 0
    .wavefront_size: 64
amdhsa.target:   amdgcn-amd-amdhsa--gfx906
amdhsa.version:
  - 1
  - 2
...

	.end_amdgpu_metadata
